;; amdgpu-corpus repo=zjin-lcf/HeCBench kind=compiled arch=gfx906 opt=O3
	.amdgcn_target "amdgcn-amd-amdhsa--gfx906"
	.amdhsa_code_object_version 6
	.section	.text._Z24ChannelShuffleNHWCKernelIfLi32EEviiPKT_PS0_,"axG",@progbits,_Z24ChannelShuffleNHWCKernelIfLi32EEviiPKT_PS0_,comdat
	.protected	_Z24ChannelShuffleNHWCKernelIfLi32EEviiPKT_PS0_ ; -- Begin function _Z24ChannelShuffleNHWCKernelIfLi32EEviiPKT_PS0_
	.globl	_Z24ChannelShuffleNHWCKernelIfLi32EEviiPKT_PS0_
	.p2align	8
	.type	_Z24ChannelShuffleNHWCKernelIfLi32EEviiPKT_PS0_,@function
_Z24ChannelShuffleNHWCKernelIfLi32EEviiPKT_PS0_: ; @_Z24ChannelShuffleNHWCKernelIfLi32EEviiPKT_PS0_
; %bb.0:
	s_load_dwordx2 s[8:9], s[4:5], 0x0
	s_load_dwordx4 s[0:3], s[4:5], 0x8
	s_waitcnt lgkmcnt(0)
	s_mul_i32 s14, s9, s8
	s_mul_i32 s6, s14, s6
	v_cmp_gt_i32_e32 vcc, s14, v0
	s_and_saveexec_b64 s[10:11], vcc
	s_cbranch_execz .LBB0_3
; %bb.1:
	s_load_dword s15, s[4:5], 0x24
	s_ashr_i32 s7, s6, 31
	s_lshl_b64 s[12:13], s[6:7], 2
	s_add_u32 s7, s0, s12
	s_addc_u32 s0, s1, s13
	s_waitcnt lgkmcnt(0)
	s_and_b32 s15, s15, 0xffff
	v_lshlrev_b32_e32 v3, 2, v0
	s_lshl_b32 s16, s15, 2
	s_mov_b64 s[12:13], 0
	v_mov_b32_e32 v4, s0
	v_mov_b32_e32 v1, v0
.LBB0_2:                                ; =>This Inner Loop Header: Depth=1
	v_ashrrev_i32_e32 v2, 31, v1
	v_lshlrev_b64 v[5:6], 2, v[1:2]
	v_add_u32_e32 v1, s15, v1
	v_add_co_u32_e64 v5, s[0:1], s7, v5
	v_addc_co_u32_e64 v6, s[0:1], v4, v6, s[0:1]
	global_load_dword v2, v[5:6], off
	v_cmp_le_i32_e64 s[0:1], s14, v1
	s_or_b64 s[12:13], s[0:1], s[12:13]
	s_waitcnt vmcnt(0)
	ds_write_b32 v3, v2
	v_add_u32_e32 v3, s16, v3
	s_andn2_b64 exec, exec, s[12:13]
	s_cbranch_execnz .LBB0_2
.LBB0_3:
	s_or_b64 exec, exec, s[10:11]
	s_waitcnt lgkmcnt(0)
	s_barrier
	s_and_saveexec_b64 s[0:1], vcc
	s_cbranch_execz .LBB0_6
; %bb.4:
	s_abs_i32 s7, s8
	v_cvt_f32_u32_e32 v1, s7
	s_sub_i32 s0, 0, s7
	s_load_dword s10, s[4:5], 0x24
	s_ashr_i32 s4, s8, 31
	v_rcp_iflag_f32_e32 v1, v1
	s_sub_i32 s5, 0, s8
	s_waitcnt lgkmcnt(0)
	s_and_b32 s8, s10, 0xffff
	v_mul_f32_e32 v1, 0x4f7ffffe, v1
	v_cvt_u32_f32_e32 v1, v1
	v_mul_lo_u32 v2, s0, v1
	s_mov_b64 s[0:1], 0
	v_mul_hi_u32 v2, v1, v2
	v_add_u32_e32 v1, v1, v2
	v_mov_b32_e32 v2, s3
.LBB0_5:                                ; =>This Inner Loop Header: Depth=1
	v_sub_u32_e32 v5, 0, v0
	v_max_i32_e32 v5, v0, v5
	v_mul_hi_u32 v6, v5, v1
	v_ashrrev_i32_e32 v4, 31, v0
	v_xor_b32_e32 v4, s4, v4
	v_add_u32_e32 v3, s6, v0
	v_mul_lo_u32 v7, v6, s7
	v_add_u32_e32 v8, 1, v6
	v_sub_u32_e32 v5, v5, v7
	v_cmp_le_u32_e32 vcc, s7, v5
	v_subrev_u32_e32 v7, s7, v5
	v_cndmask_b32_e32 v6, v6, v8, vcc
	v_cndmask_b32_e32 v5, v5, v7, vcc
	v_add_u32_e32 v7, 1, v6
	v_cmp_le_u32_e32 vcc, s7, v5
	v_cndmask_b32_e32 v5, v6, v7, vcc
	v_xor_b32_e32 v5, v5, v4
	v_sub_u32_e32 v7, v5, v4
	v_mad_u64_u32 v[5:6], s[10:11], s5, v7, v[0:1]
	v_ashrrev_i32_e32 v4, 31, v3
	v_lshlrev_b32_e32 v6, 2, v7
	v_mul_lo_u32 v5, v5, s9
	v_lshlrev_b64 v[3:4], 2, v[3:4]
	v_add_u32_e32 v0, s8, v0
	v_add_co_u32_e32 v3, vcc, s2, v3
	v_lshl_add_u32 v5, v5, 2, v6
	ds_read_b32 v5, v5
	v_addc_co_u32_e32 v4, vcc, v2, v4, vcc
	v_cmp_le_i32_e32 vcc, s14, v0
	s_or_b64 s[0:1], vcc, s[0:1]
	s_waitcnt lgkmcnt(0)
	global_store_dword v[3:4], v5, off
	s_andn2_b64 exec, exec, s[0:1]
	s_cbranch_execnz .LBB0_5
.LBB0_6:
	s_endpgm
	.section	.rodata,"a",@progbits
	.p2align	6, 0x0
	.amdhsa_kernel _Z24ChannelShuffleNHWCKernelIfLi32EEviiPKT_PS0_
		.amdhsa_group_segment_fixed_size 128
		.amdhsa_private_segment_fixed_size 0
		.amdhsa_kernarg_size 280
		.amdhsa_user_sgpr_count 6
		.amdhsa_user_sgpr_private_segment_buffer 1
		.amdhsa_user_sgpr_dispatch_ptr 0
		.amdhsa_user_sgpr_queue_ptr 0
		.amdhsa_user_sgpr_kernarg_segment_ptr 1
		.amdhsa_user_sgpr_dispatch_id 0
		.amdhsa_user_sgpr_flat_scratch_init 0
		.amdhsa_user_sgpr_private_segment_size 0
		.amdhsa_uses_dynamic_stack 0
		.amdhsa_system_sgpr_private_segment_wavefront_offset 0
		.amdhsa_system_sgpr_workgroup_id_x 1
		.amdhsa_system_sgpr_workgroup_id_y 0
		.amdhsa_system_sgpr_workgroup_id_z 0
		.amdhsa_system_sgpr_workgroup_info 0
		.amdhsa_system_vgpr_workitem_id 0
		.amdhsa_next_free_vgpr 9
		.amdhsa_next_free_sgpr 17
		.amdhsa_reserve_vcc 1
		.amdhsa_reserve_flat_scratch 0
		.amdhsa_float_round_mode_32 0
		.amdhsa_float_round_mode_16_64 0
		.amdhsa_float_denorm_mode_32 3
		.amdhsa_float_denorm_mode_16_64 3
		.amdhsa_dx10_clamp 1
		.amdhsa_ieee_mode 1
		.amdhsa_fp16_overflow 0
		.amdhsa_exception_fp_ieee_invalid_op 0
		.amdhsa_exception_fp_denorm_src 0
		.amdhsa_exception_fp_ieee_div_zero 0
		.amdhsa_exception_fp_ieee_overflow 0
		.amdhsa_exception_fp_ieee_underflow 0
		.amdhsa_exception_fp_ieee_inexact 0
		.amdhsa_exception_int_div_zero 0
	.end_amdhsa_kernel
	.section	.text._Z24ChannelShuffleNHWCKernelIfLi32EEviiPKT_PS0_,"axG",@progbits,_Z24ChannelShuffleNHWCKernelIfLi32EEviiPKT_PS0_,comdat
.Lfunc_end0:
	.size	_Z24ChannelShuffleNHWCKernelIfLi32EEviiPKT_PS0_, .Lfunc_end0-_Z24ChannelShuffleNHWCKernelIfLi32EEviiPKT_PS0_
                                        ; -- End function
	.set _Z24ChannelShuffleNHWCKernelIfLi32EEviiPKT_PS0_.num_vgpr, 9
	.set _Z24ChannelShuffleNHWCKernelIfLi32EEviiPKT_PS0_.num_agpr, 0
	.set _Z24ChannelShuffleNHWCKernelIfLi32EEviiPKT_PS0_.numbered_sgpr, 17
	.set _Z24ChannelShuffleNHWCKernelIfLi32EEviiPKT_PS0_.num_named_barrier, 0
	.set _Z24ChannelShuffleNHWCKernelIfLi32EEviiPKT_PS0_.private_seg_size, 0
	.set _Z24ChannelShuffleNHWCKernelIfLi32EEviiPKT_PS0_.uses_vcc, 1
	.set _Z24ChannelShuffleNHWCKernelIfLi32EEviiPKT_PS0_.uses_flat_scratch, 0
	.set _Z24ChannelShuffleNHWCKernelIfLi32EEviiPKT_PS0_.has_dyn_sized_stack, 0
	.set _Z24ChannelShuffleNHWCKernelIfLi32EEviiPKT_PS0_.has_recursion, 0
	.set _Z24ChannelShuffleNHWCKernelIfLi32EEviiPKT_PS0_.has_indirect_call, 0
	.section	.AMDGPU.csdata,"",@progbits
; Kernel info:
; codeLenInByte = 448
; TotalNumSgprs: 21
; NumVgprs: 9
; ScratchSize: 0
; MemoryBound: 0
; FloatMode: 240
; IeeeMode: 1
; LDSByteSize: 128 bytes/workgroup (compile time only)
; SGPRBlocks: 2
; VGPRBlocks: 2
; NumSGPRsForWavesPerEU: 21
; NumVGPRsForWavesPerEU: 9
; Occupancy: 10
; WaveLimiterHint : 0
; COMPUTE_PGM_RSRC2:SCRATCH_EN: 0
; COMPUTE_PGM_RSRC2:USER_SGPR: 6
; COMPUTE_PGM_RSRC2:TRAP_HANDLER: 0
; COMPUTE_PGM_RSRC2:TGID_X_EN: 1
; COMPUTE_PGM_RSRC2:TGID_Y_EN: 0
; COMPUTE_PGM_RSRC2:TGID_Z_EN: 0
; COMPUTE_PGM_RSRC2:TIDIG_COMP_CNT: 0
	.section	.text._Z24ChannelShuffleNHWCKernelIfLi128EEviiPKT_PS0_,"axG",@progbits,_Z24ChannelShuffleNHWCKernelIfLi128EEviiPKT_PS0_,comdat
	.protected	_Z24ChannelShuffleNHWCKernelIfLi128EEviiPKT_PS0_ ; -- Begin function _Z24ChannelShuffleNHWCKernelIfLi128EEviiPKT_PS0_
	.globl	_Z24ChannelShuffleNHWCKernelIfLi128EEviiPKT_PS0_
	.p2align	8
	.type	_Z24ChannelShuffleNHWCKernelIfLi128EEviiPKT_PS0_,@function
_Z24ChannelShuffleNHWCKernelIfLi128EEviiPKT_PS0_: ; @_Z24ChannelShuffleNHWCKernelIfLi128EEviiPKT_PS0_
; %bb.0:
	s_load_dwordx2 s[8:9], s[4:5], 0x0
	s_load_dwordx4 s[0:3], s[4:5], 0x8
	s_waitcnt lgkmcnt(0)
	s_mul_i32 s14, s9, s8
	s_mul_i32 s6, s14, s6
	v_cmp_gt_i32_e32 vcc, s14, v0
	s_and_saveexec_b64 s[10:11], vcc
	s_cbranch_execz .LBB1_3
; %bb.1:
	s_load_dword s15, s[4:5], 0x24
	s_ashr_i32 s7, s6, 31
	s_lshl_b64 s[12:13], s[6:7], 2
	s_add_u32 s7, s0, s12
	s_addc_u32 s0, s1, s13
	s_waitcnt lgkmcnt(0)
	s_and_b32 s15, s15, 0xffff
	v_lshlrev_b32_e32 v3, 2, v0
	s_lshl_b32 s16, s15, 2
	s_mov_b64 s[12:13], 0
	v_mov_b32_e32 v4, s0
	v_mov_b32_e32 v1, v0
.LBB1_2:                                ; =>This Inner Loop Header: Depth=1
	v_ashrrev_i32_e32 v2, 31, v1
	v_lshlrev_b64 v[5:6], 2, v[1:2]
	v_add_u32_e32 v1, s15, v1
	v_add_co_u32_e64 v5, s[0:1], s7, v5
	v_addc_co_u32_e64 v6, s[0:1], v4, v6, s[0:1]
	global_load_dword v2, v[5:6], off
	v_cmp_le_i32_e64 s[0:1], s14, v1
	s_or_b64 s[12:13], s[0:1], s[12:13]
	s_waitcnt vmcnt(0)
	ds_write_b32 v3, v2
	v_add_u32_e32 v3, s16, v3
	s_andn2_b64 exec, exec, s[12:13]
	s_cbranch_execnz .LBB1_2
.LBB1_3:
	s_or_b64 exec, exec, s[10:11]
	s_waitcnt lgkmcnt(0)
	s_barrier
	s_and_saveexec_b64 s[0:1], vcc
	s_cbranch_execz .LBB1_6
; %bb.4:
	s_abs_i32 s7, s8
	v_cvt_f32_u32_e32 v1, s7
	s_sub_i32 s0, 0, s7
	s_load_dword s10, s[4:5], 0x24
	s_ashr_i32 s4, s8, 31
	v_rcp_iflag_f32_e32 v1, v1
	s_sub_i32 s5, 0, s8
	s_waitcnt lgkmcnt(0)
	s_and_b32 s8, s10, 0xffff
	v_mul_f32_e32 v1, 0x4f7ffffe, v1
	v_cvt_u32_f32_e32 v1, v1
	v_mul_lo_u32 v2, s0, v1
	s_mov_b64 s[0:1], 0
	v_mul_hi_u32 v2, v1, v2
	v_add_u32_e32 v1, v1, v2
	v_mov_b32_e32 v2, s3
.LBB1_5:                                ; =>This Inner Loop Header: Depth=1
	v_sub_u32_e32 v5, 0, v0
	v_max_i32_e32 v5, v0, v5
	v_mul_hi_u32 v6, v5, v1
	v_ashrrev_i32_e32 v4, 31, v0
	v_xor_b32_e32 v4, s4, v4
	v_add_u32_e32 v3, s6, v0
	v_mul_lo_u32 v7, v6, s7
	v_add_u32_e32 v8, 1, v6
	v_sub_u32_e32 v5, v5, v7
	v_cmp_le_u32_e32 vcc, s7, v5
	v_subrev_u32_e32 v7, s7, v5
	v_cndmask_b32_e32 v6, v6, v8, vcc
	v_cndmask_b32_e32 v5, v5, v7, vcc
	v_add_u32_e32 v7, 1, v6
	v_cmp_le_u32_e32 vcc, s7, v5
	v_cndmask_b32_e32 v5, v6, v7, vcc
	v_xor_b32_e32 v5, v5, v4
	v_sub_u32_e32 v7, v5, v4
	v_mad_u64_u32 v[5:6], s[10:11], s5, v7, v[0:1]
	v_ashrrev_i32_e32 v4, 31, v3
	v_lshlrev_b32_e32 v6, 2, v7
	v_mul_lo_u32 v5, v5, s9
	v_lshlrev_b64 v[3:4], 2, v[3:4]
	v_add_u32_e32 v0, s8, v0
	v_add_co_u32_e32 v3, vcc, s2, v3
	v_lshl_add_u32 v5, v5, 2, v6
	ds_read_b32 v5, v5
	v_addc_co_u32_e32 v4, vcc, v2, v4, vcc
	v_cmp_le_i32_e32 vcc, s14, v0
	s_or_b64 s[0:1], vcc, s[0:1]
	s_waitcnt lgkmcnt(0)
	global_store_dword v[3:4], v5, off
	s_andn2_b64 exec, exec, s[0:1]
	s_cbranch_execnz .LBB1_5
.LBB1_6:
	s_endpgm
	.section	.rodata,"a",@progbits
	.p2align	6, 0x0
	.amdhsa_kernel _Z24ChannelShuffleNHWCKernelIfLi128EEviiPKT_PS0_
		.amdhsa_group_segment_fixed_size 512
		.amdhsa_private_segment_fixed_size 0
		.amdhsa_kernarg_size 280
		.amdhsa_user_sgpr_count 6
		.amdhsa_user_sgpr_private_segment_buffer 1
		.amdhsa_user_sgpr_dispatch_ptr 0
		.amdhsa_user_sgpr_queue_ptr 0
		.amdhsa_user_sgpr_kernarg_segment_ptr 1
		.amdhsa_user_sgpr_dispatch_id 0
		.amdhsa_user_sgpr_flat_scratch_init 0
		.amdhsa_user_sgpr_private_segment_size 0
		.amdhsa_uses_dynamic_stack 0
		.amdhsa_system_sgpr_private_segment_wavefront_offset 0
		.amdhsa_system_sgpr_workgroup_id_x 1
		.amdhsa_system_sgpr_workgroup_id_y 0
		.amdhsa_system_sgpr_workgroup_id_z 0
		.amdhsa_system_sgpr_workgroup_info 0
		.amdhsa_system_vgpr_workitem_id 0
		.amdhsa_next_free_vgpr 9
		.amdhsa_next_free_sgpr 17
		.amdhsa_reserve_vcc 1
		.amdhsa_reserve_flat_scratch 0
		.amdhsa_float_round_mode_32 0
		.amdhsa_float_round_mode_16_64 0
		.amdhsa_float_denorm_mode_32 3
		.amdhsa_float_denorm_mode_16_64 3
		.amdhsa_dx10_clamp 1
		.amdhsa_ieee_mode 1
		.amdhsa_fp16_overflow 0
		.amdhsa_exception_fp_ieee_invalid_op 0
		.amdhsa_exception_fp_denorm_src 0
		.amdhsa_exception_fp_ieee_div_zero 0
		.amdhsa_exception_fp_ieee_overflow 0
		.amdhsa_exception_fp_ieee_underflow 0
		.amdhsa_exception_fp_ieee_inexact 0
		.amdhsa_exception_int_div_zero 0
	.end_amdhsa_kernel
	.section	.text._Z24ChannelShuffleNHWCKernelIfLi128EEviiPKT_PS0_,"axG",@progbits,_Z24ChannelShuffleNHWCKernelIfLi128EEviiPKT_PS0_,comdat
.Lfunc_end1:
	.size	_Z24ChannelShuffleNHWCKernelIfLi128EEviiPKT_PS0_, .Lfunc_end1-_Z24ChannelShuffleNHWCKernelIfLi128EEviiPKT_PS0_
                                        ; -- End function
	.set _Z24ChannelShuffleNHWCKernelIfLi128EEviiPKT_PS0_.num_vgpr, 9
	.set _Z24ChannelShuffleNHWCKernelIfLi128EEviiPKT_PS0_.num_agpr, 0
	.set _Z24ChannelShuffleNHWCKernelIfLi128EEviiPKT_PS0_.numbered_sgpr, 17
	.set _Z24ChannelShuffleNHWCKernelIfLi128EEviiPKT_PS0_.num_named_barrier, 0
	.set _Z24ChannelShuffleNHWCKernelIfLi128EEviiPKT_PS0_.private_seg_size, 0
	.set _Z24ChannelShuffleNHWCKernelIfLi128EEviiPKT_PS0_.uses_vcc, 1
	.set _Z24ChannelShuffleNHWCKernelIfLi128EEviiPKT_PS0_.uses_flat_scratch, 0
	.set _Z24ChannelShuffleNHWCKernelIfLi128EEviiPKT_PS0_.has_dyn_sized_stack, 0
	.set _Z24ChannelShuffleNHWCKernelIfLi128EEviiPKT_PS0_.has_recursion, 0
	.set _Z24ChannelShuffleNHWCKernelIfLi128EEviiPKT_PS0_.has_indirect_call, 0
	.section	.AMDGPU.csdata,"",@progbits
; Kernel info:
; codeLenInByte = 448
; TotalNumSgprs: 21
; NumVgprs: 9
; ScratchSize: 0
; MemoryBound: 0
; FloatMode: 240
; IeeeMode: 1
; LDSByteSize: 512 bytes/workgroup (compile time only)
; SGPRBlocks: 2
; VGPRBlocks: 2
; NumSGPRsForWavesPerEU: 21
; NumVGPRsForWavesPerEU: 9
; Occupancy: 10
; WaveLimiterHint : 0
; COMPUTE_PGM_RSRC2:SCRATCH_EN: 0
; COMPUTE_PGM_RSRC2:USER_SGPR: 6
; COMPUTE_PGM_RSRC2:TRAP_HANDLER: 0
; COMPUTE_PGM_RSRC2:TGID_X_EN: 1
; COMPUTE_PGM_RSRC2:TGID_Y_EN: 0
; COMPUTE_PGM_RSRC2:TGID_Z_EN: 0
; COMPUTE_PGM_RSRC2:TIDIG_COMP_CNT: 0
	.section	.text._Z24ChannelShuffleNHWCKernelIfLi512EEviiPKT_PS0_,"axG",@progbits,_Z24ChannelShuffleNHWCKernelIfLi512EEviiPKT_PS0_,comdat
	.protected	_Z24ChannelShuffleNHWCKernelIfLi512EEviiPKT_PS0_ ; -- Begin function _Z24ChannelShuffleNHWCKernelIfLi512EEviiPKT_PS0_
	.globl	_Z24ChannelShuffleNHWCKernelIfLi512EEviiPKT_PS0_
	.p2align	8
	.type	_Z24ChannelShuffleNHWCKernelIfLi512EEviiPKT_PS0_,@function
_Z24ChannelShuffleNHWCKernelIfLi512EEviiPKT_PS0_: ; @_Z24ChannelShuffleNHWCKernelIfLi512EEviiPKT_PS0_
; %bb.0:
	s_load_dwordx2 s[8:9], s[4:5], 0x0
	s_load_dwordx4 s[0:3], s[4:5], 0x8
	s_waitcnt lgkmcnt(0)
	s_mul_i32 s14, s9, s8
	s_mul_i32 s6, s14, s6
	v_cmp_gt_i32_e32 vcc, s14, v0
	s_and_saveexec_b64 s[10:11], vcc
	s_cbranch_execz .LBB2_3
; %bb.1:
	s_load_dword s15, s[4:5], 0x24
	s_ashr_i32 s7, s6, 31
	s_lshl_b64 s[12:13], s[6:7], 2
	s_add_u32 s7, s0, s12
	s_addc_u32 s0, s1, s13
	s_waitcnt lgkmcnt(0)
	s_and_b32 s15, s15, 0xffff
	v_lshlrev_b32_e32 v3, 2, v0
	s_lshl_b32 s16, s15, 2
	s_mov_b64 s[12:13], 0
	v_mov_b32_e32 v4, s0
	v_mov_b32_e32 v1, v0
.LBB2_2:                                ; =>This Inner Loop Header: Depth=1
	v_ashrrev_i32_e32 v2, 31, v1
	v_lshlrev_b64 v[5:6], 2, v[1:2]
	v_add_u32_e32 v1, s15, v1
	v_add_co_u32_e64 v5, s[0:1], s7, v5
	v_addc_co_u32_e64 v6, s[0:1], v4, v6, s[0:1]
	global_load_dword v2, v[5:6], off
	v_cmp_le_i32_e64 s[0:1], s14, v1
	s_or_b64 s[12:13], s[0:1], s[12:13]
	s_waitcnt vmcnt(0)
	ds_write_b32 v3, v2
	v_add_u32_e32 v3, s16, v3
	s_andn2_b64 exec, exec, s[12:13]
	s_cbranch_execnz .LBB2_2
.LBB2_3:
	s_or_b64 exec, exec, s[10:11]
	s_waitcnt lgkmcnt(0)
	s_barrier
	s_and_saveexec_b64 s[0:1], vcc
	s_cbranch_execz .LBB2_6
; %bb.4:
	s_abs_i32 s7, s8
	v_cvt_f32_u32_e32 v1, s7
	s_sub_i32 s0, 0, s7
	s_load_dword s10, s[4:5], 0x24
	s_ashr_i32 s4, s8, 31
	v_rcp_iflag_f32_e32 v1, v1
	s_sub_i32 s5, 0, s8
	s_waitcnt lgkmcnt(0)
	s_and_b32 s8, s10, 0xffff
	v_mul_f32_e32 v1, 0x4f7ffffe, v1
	v_cvt_u32_f32_e32 v1, v1
	v_mul_lo_u32 v2, s0, v1
	s_mov_b64 s[0:1], 0
	v_mul_hi_u32 v2, v1, v2
	v_add_u32_e32 v1, v1, v2
	v_mov_b32_e32 v2, s3
.LBB2_5:                                ; =>This Inner Loop Header: Depth=1
	v_sub_u32_e32 v5, 0, v0
	v_max_i32_e32 v5, v0, v5
	v_mul_hi_u32 v6, v5, v1
	v_ashrrev_i32_e32 v4, 31, v0
	v_xor_b32_e32 v4, s4, v4
	v_add_u32_e32 v3, s6, v0
	v_mul_lo_u32 v7, v6, s7
	v_add_u32_e32 v8, 1, v6
	v_sub_u32_e32 v5, v5, v7
	v_cmp_le_u32_e32 vcc, s7, v5
	v_subrev_u32_e32 v7, s7, v5
	v_cndmask_b32_e32 v6, v6, v8, vcc
	v_cndmask_b32_e32 v5, v5, v7, vcc
	v_add_u32_e32 v7, 1, v6
	v_cmp_le_u32_e32 vcc, s7, v5
	v_cndmask_b32_e32 v5, v6, v7, vcc
	v_xor_b32_e32 v5, v5, v4
	v_sub_u32_e32 v7, v5, v4
	v_mad_u64_u32 v[5:6], s[10:11], s5, v7, v[0:1]
	v_ashrrev_i32_e32 v4, 31, v3
	v_lshlrev_b32_e32 v6, 2, v7
	v_mul_lo_u32 v5, v5, s9
	v_lshlrev_b64 v[3:4], 2, v[3:4]
	v_add_u32_e32 v0, s8, v0
	v_add_co_u32_e32 v3, vcc, s2, v3
	v_lshl_add_u32 v5, v5, 2, v6
	ds_read_b32 v5, v5
	v_addc_co_u32_e32 v4, vcc, v2, v4, vcc
	v_cmp_le_i32_e32 vcc, s14, v0
	s_or_b64 s[0:1], vcc, s[0:1]
	s_waitcnt lgkmcnt(0)
	global_store_dword v[3:4], v5, off
	s_andn2_b64 exec, exec, s[0:1]
	s_cbranch_execnz .LBB2_5
.LBB2_6:
	s_endpgm
	.section	.rodata,"a",@progbits
	.p2align	6, 0x0
	.amdhsa_kernel _Z24ChannelShuffleNHWCKernelIfLi512EEviiPKT_PS0_
		.amdhsa_group_segment_fixed_size 2048
		.amdhsa_private_segment_fixed_size 0
		.amdhsa_kernarg_size 280
		.amdhsa_user_sgpr_count 6
		.amdhsa_user_sgpr_private_segment_buffer 1
		.amdhsa_user_sgpr_dispatch_ptr 0
		.amdhsa_user_sgpr_queue_ptr 0
		.amdhsa_user_sgpr_kernarg_segment_ptr 1
		.amdhsa_user_sgpr_dispatch_id 0
		.amdhsa_user_sgpr_flat_scratch_init 0
		.amdhsa_user_sgpr_private_segment_size 0
		.amdhsa_uses_dynamic_stack 0
		.amdhsa_system_sgpr_private_segment_wavefront_offset 0
		.amdhsa_system_sgpr_workgroup_id_x 1
		.amdhsa_system_sgpr_workgroup_id_y 0
		.amdhsa_system_sgpr_workgroup_id_z 0
		.amdhsa_system_sgpr_workgroup_info 0
		.amdhsa_system_vgpr_workitem_id 0
		.amdhsa_next_free_vgpr 29
		.amdhsa_next_free_sgpr 61
		.amdhsa_reserve_vcc 1
		.amdhsa_reserve_flat_scratch 0
		.amdhsa_float_round_mode_32 0
		.amdhsa_float_round_mode_16_64 0
		.amdhsa_float_denorm_mode_32 3
		.amdhsa_float_denorm_mode_16_64 3
		.amdhsa_dx10_clamp 1
		.amdhsa_ieee_mode 1
		.amdhsa_fp16_overflow 0
		.amdhsa_exception_fp_ieee_invalid_op 0
		.amdhsa_exception_fp_denorm_src 0
		.amdhsa_exception_fp_ieee_div_zero 0
		.amdhsa_exception_fp_ieee_overflow 0
		.amdhsa_exception_fp_ieee_underflow 0
		.amdhsa_exception_fp_ieee_inexact 0
		.amdhsa_exception_int_div_zero 0
	.end_amdhsa_kernel
	.section	.text._Z24ChannelShuffleNHWCKernelIfLi512EEviiPKT_PS0_,"axG",@progbits,_Z24ChannelShuffleNHWCKernelIfLi512EEviiPKT_PS0_,comdat
.Lfunc_end2:
	.size	_Z24ChannelShuffleNHWCKernelIfLi512EEviiPKT_PS0_, .Lfunc_end2-_Z24ChannelShuffleNHWCKernelIfLi512EEviiPKT_PS0_
                                        ; -- End function
	.set _Z24ChannelShuffleNHWCKernelIfLi512EEviiPKT_PS0_.num_vgpr, 9
	.set _Z24ChannelShuffleNHWCKernelIfLi512EEviiPKT_PS0_.num_agpr, 0
	.set _Z24ChannelShuffleNHWCKernelIfLi512EEviiPKT_PS0_.numbered_sgpr, 17
	.set _Z24ChannelShuffleNHWCKernelIfLi512EEviiPKT_PS0_.num_named_barrier, 0
	.set _Z24ChannelShuffleNHWCKernelIfLi512EEviiPKT_PS0_.private_seg_size, 0
	.set _Z24ChannelShuffleNHWCKernelIfLi512EEviiPKT_PS0_.uses_vcc, 1
	.set _Z24ChannelShuffleNHWCKernelIfLi512EEviiPKT_PS0_.uses_flat_scratch, 0
	.set _Z24ChannelShuffleNHWCKernelIfLi512EEviiPKT_PS0_.has_dyn_sized_stack, 0
	.set _Z24ChannelShuffleNHWCKernelIfLi512EEviiPKT_PS0_.has_recursion, 0
	.set _Z24ChannelShuffleNHWCKernelIfLi512EEviiPKT_PS0_.has_indirect_call, 0
	.section	.AMDGPU.csdata,"",@progbits
; Kernel info:
; codeLenInByte = 448
; TotalNumSgprs: 21
; NumVgprs: 9
; ScratchSize: 0
; MemoryBound: 0
; FloatMode: 240
; IeeeMode: 1
; LDSByteSize: 2048 bytes/workgroup (compile time only)
; SGPRBlocks: 8
; VGPRBlocks: 7
; NumSGPRsForWavesPerEU: 65
; NumVGPRsForWavesPerEU: 29
; Occupancy: 8
; WaveLimiterHint : 0
; COMPUTE_PGM_RSRC2:SCRATCH_EN: 0
; COMPUTE_PGM_RSRC2:USER_SGPR: 6
; COMPUTE_PGM_RSRC2:TRAP_HANDLER: 0
; COMPUTE_PGM_RSRC2:TGID_X_EN: 1
; COMPUTE_PGM_RSRC2:TGID_Y_EN: 0
; COMPUTE_PGM_RSRC2:TGID_Z_EN: 0
; COMPUTE_PGM_RSRC2:TIDIG_COMP_CNT: 0
	.section	.text._Z24ChannelShuffleNCHWKernelIfLb0EEviiiPKT_PS0_,"axG",@progbits,_Z24ChannelShuffleNCHWKernelIfLb0EEviiiPKT_PS0_,comdat
	.protected	_Z24ChannelShuffleNCHWKernelIfLb0EEviiiPKT_PS0_ ; -- Begin function _Z24ChannelShuffleNCHWKernelIfLb0EEviiiPKT_PS0_
	.globl	_Z24ChannelShuffleNCHWKernelIfLb0EEviiiPKT_PS0_
	.p2align	8
	.type	_Z24ChannelShuffleNCHWKernelIfLb0EEviiiPKT_PS0_,@function
_Z24ChannelShuffleNCHWKernelIfLb0EEviiiPKT_PS0_: ; @_Z24ChannelShuffleNCHWKernelIfLb0EEviiiPKT_PS0_
; %bb.0:
	s_load_dwordx4 s[0:3], s[4:5], 0x0
	v_lshl_add_u32 v0, s6, 8, v0
	s_waitcnt lgkmcnt(0)
	v_cmp_gt_i32_e32 vcc, s2, v0
	s_and_saveexec_b64 s[10:11], vcc
	s_cbranch_execz .LBB3_2
; %bb.1:
	v_cvt_f32_u32_e32 v1, s0
	s_load_dwordx4 s[12:15], s[4:5], 0x10
	s_sub_i32 s3, 0, s0
	s_mul_i32 s4, s0, s7
	v_rcp_iflag_f32_e32 v1, v1
	s_mul_i32 s4, s4, s1
	v_mul_f32_e32 v1, 0x4f7ffffe, v1
	v_cvt_u32_f32_e32 v3, v1
	v_ashrrev_i32_e32 v1, 31, v0
	v_lshlrev_b64 v[1:2], 2, v[0:1]
	v_readfirstlane_b32 s5, v3
	s_mul_i32 s3, s3, s5
	s_mul_hi_u32 s3, s5, s3
	s_add_i32 s5, s5, s3
	s_mul_hi_u32 s3, s8, s5
	s_mul_i32 s5, s3, s0
	s_sub_i32 s5, s8, s5
	s_add_i32 s6, s3, 1
	s_sub_i32 s7, s5, s0
	s_cmp_ge_u32 s5, s0
	s_cselect_b32 s3, s6, s3
	s_cselect_b32 s5, s7, s5
	s_add_i32 s6, s3, 1
	s_cmp_ge_u32 s5, s0
	s_cselect_b32 s3, s6, s3
	s_mul_i32 s0, s3, s0
	s_sub_i32 s0, s8, s0
	s_add_i32 s3, s3, s4
	s_mul_i32 s0, s0, s1
	s_add_i32 s0, s3, s0
	s_mul_i32 s0, s0, s2
	s_ashr_i32 s1, s0, 31
	s_lshl_b64 s[0:1], s[0:1], 2
	s_waitcnt lgkmcnt(0)
	s_add_u32 s0, s12, s0
	s_addc_u32 s1, s13, s1
	v_mov_b32_e32 v3, s1
	v_add_co_u32_e32 v1, vcc, s0, v1
	v_addc_co_u32_e32 v2, vcc, v3, v2, vcc
	global_load_dword v2, v[1:2], off
	s_add_i32 s0, s4, s8
	s_mul_i32 s0, s0, s2
	v_add_u32_e32 v0, s0, v0
	v_mov_b32_e32 v1, 0
	v_lshlrev_b64 v[0:1], 2, v[0:1]
	v_mov_b32_e32 v3, s15
	v_add_co_u32_e32 v0, vcc, s14, v0
	v_addc_co_u32_e32 v1, vcc, v3, v1, vcc
	s_waitcnt vmcnt(0)
	global_store_dword v[0:1], v2, off
.LBB3_2:
	s_endpgm
	.section	.rodata,"a",@progbits
	.p2align	6, 0x0
	.amdhsa_kernel _Z24ChannelShuffleNCHWKernelIfLb0EEviiiPKT_PS0_
		.amdhsa_group_segment_fixed_size 0
		.amdhsa_private_segment_fixed_size 0
		.amdhsa_kernarg_size 32
		.amdhsa_user_sgpr_count 6
		.amdhsa_user_sgpr_private_segment_buffer 1
		.amdhsa_user_sgpr_dispatch_ptr 0
		.amdhsa_user_sgpr_queue_ptr 0
		.amdhsa_user_sgpr_kernarg_segment_ptr 1
		.amdhsa_user_sgpr_dispatch_id 0
		.amdhsa_user_sgpr_flat_scratch_init 0
		.amdhsa_user_sgpr_private_segment_size 0
		.amdhsa_uses_dynamic_stack 0
		.amdhsa_system_sgpr_private_segment_wavefront_offset 0
		.amdhsa_system_sgpr_workgroup_id_x 1
		.amdhsa_system_sgpr_workgroup_id_y 1
		.amdhsa_system_sgpr_workgroup_id_z 1
		.amdhsa_system_sgpr_workgroup_info 0
		.amdhsa_system_vgpr_workitem_id 0
		.amdhsa_next_free_vgpr 4
		.amdhsa_next_free_sgpr 16
		.amdhsa_reserve_vcc 1
		.amdhsa_reserve_flat_scratch 0
		.amdhsa_float_round_mode_32 0
		.amdhsa_float_round_mode_16_64 0
		.amdhsa_float_denorm_mode_32 3
		.amdhsa_float_denorm_mode_16_64 3
		.amdhsa_dx10_clamp 1
		.amdhsa_ieee_mode 1
		.amdhsa_fp16_overflow 0
		.amdhsa_exception_fp_ieee_invalid_op 0
		.amdhsa_exception_fp_denorm_src 0
		.amdhsa_exception_fp_ieee_div_zero 0
		.amdhsa_exception_fp_ieee_overflow 0
		.amdhsa_exception_fp_ieee_underflow 0
		.amdhsa_exception_fp_ieee_inexact 0
		.amdhsa_exception_int_div_zero 0
	.end_amdhsa_kernel
	.section	.text._Z24ChannelShuffleNCHWKernelIfLb0EEviiiPKT_PS0_,"axG",@progbits,_Z24ChannelShuffleNCHWKernelIfLb0EEviiiPKT_PS0_,comdat
.Lfunc_end3:
	.size	_Z24ChannelShuffleNCHWKernelIfLb0EEviiiPKT_PS0_, .Lfunc_end3-_Z24ChannelShuffleNCHWKernelIfLb0EEviiiPKT_PS0_
                                        ; -- End function
	.set _Z24ChannelShuffleNCHWKernelIfLb0EEviiiPKT_PS0_.num_vgpr, 4
	.set _Z24ChannelShuffleNCHWKernelIfLb0EEviiiPKT_PS0_.num_agpr, 0
	.set _Z24ChannelShuffleNCHWKernelIfLb0EEviiiPKT_PS0_.numbered_sgpr, 16
	.set _Z24ChannelShuffleNCHWKernelIfLb0EEviiiPKT_PS0_.num_named_barrier, 0
	.set _Z24ChannelShuffleNCHWKernelIfLb0EEviiiPKT_PS0_.private_seg_size, 0
	.set _Z24ChannelShuffleNCHWKernelIfLb0EEviiiPKT_PS0_.uses_vcc, 1
	.set _Z24ChannelShuffleNCHWKernelIfLb0EEviiiPKT_PS0_.uses_flat_scratch, 0
	.set _Z24ChannelShuffleNCHWKernelIfLb0EEviiiPKT_PS0_.has_dyn_sized_stack, 0
	.set _Z24ChannelShuffleNCHWKernelIfLb0EEviiiPKT_PS0_.has_recursion, 0
	.set _Z24ChannelShuffleNCHWKernelIfLb0EEviiiPKT_PS0_.has_indirect_call, 0
	.section	.AMDGPU.csdata,"",@progbits
; Kernel info:
; codeLenInByte = 260
; TotalNumSgprs: 20
; NumVgprs: 4
; ScratchSize: 0
; MemoryBound: 0
; FloatMode: 240
; IeeeMode: 1
; LDSByteSize: 0 bytes/workgroup (compile time only)
; SGPRBlocks: 2
; VGPRBlocks: 0
; NumSGPRsForWavesPerEU: 20
; NumVGPRsForWavesPerEU: 4
; Occupancy: 10
; WaveLimiterHint : 0
; COMPUTE_PGM_RSRC2:SCRATCH_EN: 0
; COMPUTE_PGM_RSRC2:USER_SGPR: 6
; COMPUTE_PGM_RSRC2:TRAP_HANDLER: 0
; COMPUTE_PGM_RSRC2:TGID_X_EN: 1
; COMPUTE_PGM_RSRC2:TGID_Y_EN: 1
; COMPUTE_PGM_RSRC2:TGID_Z_EN: 1
; COMPUTE_PGM_RSRC2:TIDIG_COMP_CNT: 0
	.section	.text._Z24ChannelShuffleNCHWKernelIfLb1EEviiiPKT_PS0_,"axG",@progbits,_Z24ChannelShuffleNCHWKernelIfLb1EEviiiPKT_PS0_,comdat
	.protected	_Z24ChannelShuffleNCHWKernelIfLb1EEviiiPKT_PS0_ ; -- Begin function _Z24ChannelShuffleNCHWKernelIfLb1EEviiiPKT_PS0_
	.globl	_Z24ChannelShuffleNCHWKernelIfLb1EEviiiPKT_PS0_
	.p2align	8
	.type	_Z24ChannelShuffleNCHWKernelIfLb1EEviiiPKT_PS0_,@function
_Z24ChannelShuffleNCHWKernelIfLb1EEviiiPKT_PS0_: ; @_Z24ChannelShuffleNCHWKernelIfLb1EEviiiPKT_PS0_
; %bb.0:
	s_load_dwordx4 s[0:3], s[4:5], 0x0
	v_lshl_add_u32 v0, s7, 8, v0
	s_waitcnt lgkmcnt(0)
	v_cmp_gt_i32_e32 vcc, s2, v0
	s_and_saveexec_b64 s[10:11], vcc
	s_cbranch_execz .LBB4_2
; %bb.1:
	v_cvt_f32_u32_e32 v1, s0
	s_load_dwordx4 s[12:15], s[4:5], 0x10
	s_sub_i32 s3, 0, s0
	s_mul_i32 s4, s0, s6
	v_rcp_iflag_f32_e32 v1, v1
	s_mul_i32 s4, s4, s1
	v_mul_f32_e32 v1, 0x4f7ffffe, v1
	v_cvt_u32_f32_e32 v3, v1
	v_ashrrev_i32_e32 v1, 31, v0
	v_lshlrev_b64 v[1:2], 2, v[0:1]
	v_readfirstlane_b32 s5, v3
	s_mul_i32 s3, s3, s5
	s_mul_hi_u32 s3, s5, s3
	s_add_i32 s5, s5, s3
	s_mul_hi_u32 s3, s8, s5
	s_mul_i32 s5, s3, s0
	s_sub_i32 s5, s8, s5
	s_add_i32 s6, s3, 1
	s_sub_i32 s7, s5, s0
	s_cmp_ge_u32 s5, s0
	s_cselect_b32 s3, s6, s3
	s_cselect_b32 s5, s7, s5
	s_add_i32 s6, s3, 1
	s_cmp_ge_u32 s5, s0
	s_cselect_b32 s3, s6, s3
	s_mul_i32 s0, s3, s0
	s_sub_i32 s0, s8, s0
	s_add_i32 s3, s3, s4
	s_mul_i32 s0, s0, s1
	s_add_i32 s0, s3, s0
	s_mul_i32 s0, s0, s2
	s_ashr_i32 s1, s0, 31
	s_lshl_b64 s[0:1], s[0:1], 2
	s_waitcnt lgkmcnt(0)
	s_add_u32 s0, s12, s0
	s_addc_u32 s1, s13, s1
	v_mov_b32_e32 v3, s1
	v_add_co_u32_e32 v1, vcc, s0, v1
	v_addc_co_u32_e32 v2, vcc, v3, v2, vcc
	global_load_dword v2, v[1:2], off
	s_add_i32 s0, s4, s8
	s_mul_i32 s0, s0, s2
	v_add_u32_e32 v0, s0, v0
	v_mov_b32_e32 v1, 0
	v_lshlrev_b64 v[0:1], 2, v[0:1]
	v_mov_b32_e32 v3, s15
	v_add_co_u32_e32 v0, vcc, s14, v0
	v_addc_co_u32_e32 v1, vcc, v3, v1, vcc
	s_waitcnt vmcnt(0)
	global_store_dword v[0:1], v2, off
.LBB4_2:
	s_endpgm
	.section	.rodata,"a",@progbits
	.p2align	6, 0x0
	.amdhsa_kernel _Z24ChannelShuffleNCHWKernelIfLb1EEviiiPKT_PS0_
		.amdhsa_group_segment_fixed_size 0
		.amdhsa_private_segment_fixed_size 0
		.amdhsa_kernarg_size 32
		.amdhsa_user_sgpr_count 6
		.amdhsa_user_sgpr_private_segment_buffer 1
		.amdhsa_user_sgpr_dispatch_ptr 0
		.amdhsa_user_sgpr_queue_ptr 0
		.amdhsa_user_sgpr_kernarg_segment_ptr 1
		.amdhsa_user_sgpr_dispatch_id 0
		.amdhsa_user_sgpr_flat_scratch_init 0
		.amdhsa_user_sgpr_private_segment_size 0
		.amdhsa_uses_dynamic_stack 0
		.amdhsa_system_sgpr_private_segment_wavefront_offset 0
		.amdhsa_system_sgpr_workgroup_id_x 1
		.amdhsa_system_sgpr_workgroup_id_y 1
		.amdhsa_system_sgpr_workgroup_id_z 1
		.amdhsa_system_sgpr_workgroup_info 0
		.amdhsa_system_vgpr_workitem_id 0
		.amdhsa_next_free_vgpr 4
		.amdhsa_next_free_sgpr 16
		.amdhsa_reserve_vcc 1
		.amdhsa_reserve_flat_scratch 0
		.amdhsa_float_round_mode_32 0
		.amdhsa_float_round_mode_16_64 0
		.amdhsa_float_denorm_mode_32 3
		.amdhsa_float_denorm_mode_16_64 3
		.amdhsa_dx10_clamp 1
		.amdhsa_ieee_mode 1
		.amdhsa_fp16_overflow 0
		.amdhsa_exception_fp_ieee_invalid_op 0
		.amdhsa_exception_fp_denorm_src 0
		.amdhsa_exception_fp_ieee_div_zero 0
		.amdhsa_exception_fp_ieee_overflow 0
		.amdhsa_exception_fp_ieee_underflow 0
		.amdhsa_exception_fp_ieee_inexact 0
		.amdhsa_exception_int_div_zero 0
	.end_amdhsa_kernel
	.section	.text._Z24ChannelShuffleNCHWKernelIfLb1EEviiiPKT_PS0_,"axG",@progbits,_Z24ChannelShuffleNCHWKernelIfLb1EEviiiPKT_PS0_,comdat
.Lfunc_end4:
	.size	_Z24ChannelShuffleNCHWKernelIfLb1EEviiiPKT_PS0_, .Lfunc_end4-_Z24ChannelShuffleNCHWKernelIfLb1EEviiiPKT_PS0_
                                        ; -- End function
	.set _Z24ChannelShuffleNCHWKernelIfLb1EEviiiPKT_PS0_.num_vgpr, 4
	.set _Z24ChannelShuffleNCHWKernelIfLb1EEviiiPKT_PS0_.num_agpr, 0
	.set _Z24ChannelShuffleNCHWKernelIfLb1EEviiiPKT_PS0_.numbered_sgpr, 16
	.set _Z24ChannelShuffleNCHWKernelIfLb1EEviiiPKT_PS0_.num_named_barrier, 0
	.set _Z24ChannelShuffleNCHWKernelIfLb1EEviiiPKT_PS0_.private_seg_size, 0
	.set _Z24ChannelShuffleNCHWKernelIfLb1EEviiiPKT_PS0_.uses_vcc, 1
	.set _Z24ChannelShuffleNCHWKernelIfLb1EEviiiPKT_PS0_.uses_flat_scratch, 0
	.set _Z24ChannelShuffleNCHWKernelIfLb1EEviiiPKT_PS0_.has_dyn_sized_stack, 0
	.set _Z24ChannelShuffleNCHWKernelIfLb1EEviiiPKT_PS0_.has_recursion, 0
	.set _Z24ChannelShuffleNCHWKernelIfLb1EEviiiPKT_PS0_.has_indirect_call, 0
	.section	.AMDGPU.csdata,"",@progbits
; Kernel info:
; codeLenInByte = 260
; TotalNumSgprs: 20
; NumVgprs: 4
; ScratchSize: 0
; MemoryBound: 0
; FloatMode: 240
; IeeeMode: 1
; LDSByteSize: 0 bytes/workgroup (compile time only)
; SGPRBlocks: 2
; VGPRBlocks: 0
; NumSGPRsForWavesPerEU: 20
; NumVGPRsForWavesPerEU: 4
; Occupancy: 10
; WaveLimiterHint : 0
; COMPUTE_PGM_RSRC2:SCRATCH_EN: 0
; COMPUTE_PGM_RSRC2:USER_SGPR: 6
; COMPUTE_PGM_RSRC2:TRAP_HANDLER: 0
; COMPUTE_PGM_RSRC2:TGID_X_EN: 1
; COMPUTE_PGM_RSRC2:TGID_Y_EN: 1
; COMPUTE_PGM_RSRC2:TGID_Z_EN: 1
; COMPUTE_PGM_RSRC2:TIDIG_COMP_CNT: 0
	.section	.AMDGPU.gpr_maximums,"",@progbits
	.set amdgpu.max_num_vgpr, 0
	.set amdgpu.max_num_agpr, 0
	.set amdgpu.max_num_sgpr, 0
	.section	.AMDGPU.csdata,"",@progbits
	.type	__hip_cuid_c3db7c32bc6bc273,@object ; @__hip_cuid_c3db7c32bc6bc273
	.section	.bss,"aw",@nobits
	.globl	__hip_cuid_c3db7c32bc6bc273
__hip_cuid_c3db7c32bc6bc273:
	.byte	0                               ; 0x0
	.size	__hip_cuid_c3db7c32bc6bc273, 1

	.ident	"AMD clang version 22.0.0git (https://github.com/RadeonOpenCompute/llvm-project roc-7.2.4 26084 f58b06dce1f9c15707c5f808fd002e18c2accf7e)"
	.section	".note.GNU-stack","",@progbits
	.addrsig
	.addrsig_sym __hip_cuid_c3db7c32bc6bc273
	.amdgpu_metadata
---
amdhsa.kernels:
  - .args:
      - .offset:         0
        .size:           4
        .value_kind:     by_value
      - .offset:         4
        .size:           4
        .value_kind:     by_value
      - .address_space:  global
        .offset:         8
        .size:           8
        .value_kind:     global_buffer
      - .address_space:  global
        .offset:         16
        .size:           8
        .value_kind:     global_buffer
      - .offset:         24
        .size:           4
        .value_kind:     hidden_block_count_x
      - .offset:         28
        .size:           4
        .value_kind:     hidden_block_count_y
      - .offset:         32
        .size:           4
        .value_kind:     hidden_block_count_z
      - .offset:         36
        .size:           2
        .value_kind:     hidden_group_size_x
      - .offset:         38
        .size:           2
        .value_kind:     hidden_group_size_y
      - .offset:         40
        .size:           2
        .value_kind:     hidden_group_size_z
      - .offset:         42
        .size:           2
        .value_kind:     hidden_remainder_x
      - .offset:         44
        .size:           2
        .value_kind:     hidden_remainder_y
      - .offset:         46
        .size:           2
        .value_kind:     hidden_remainder_z
      - .offset:         64
        .size:           8
        .value_kind:     hidden_global_offset_x
      - .offset:         72
        .size:           8
        .value_kind:     hidden_global_offset_y
      - .offset:         80
        .size:           8
        .value_kind:     hidden_global_offset_z
      - .offset:         88
        .size:           2
        .value_kind:     hidden_grid_dims
    .group_segment_fixed_size: 128
    .kernarg_segment_align: 8
    .kernarg_segment_size: 280
    .language:       OpenCL C
    .language_version:
      - 2
      - 0
    .max_flat_workgroup_size: 1024
    .name:           _Z24ChannelShuffleNHWCKernelIfLi32EEviiPKT_PS0_
    .private_segment_fixed_size: 0
    .sgpr_count:     21
    .sgpr_spill_count: 0
    .symbol:         _Z24ChannelShuffleNHWCKernelIfLi32EEviiPKT_PS0_.kd
    .uniform_work_group_size: 1
    .uses_dynamic_stack: false
    .vgpr_count:     9
    .vgpr_spill_count: 0
    .wavefront_size: 64
  - .args:
      - .offset:         0
        .size:           4
        .value_kind:     by_value
      - .offset:         4
        .size:           4
        .value_kind:     by_value
      - .address_space:  global
        .offset:         8
        .size:           8
        .value_kind:     global_buffer
      - .address_space:  global
        .offset:         16
        .size:           8
        .value_kind:     global_buffer
      - .offset:         24
        .size:           4
        .value_kind:     hidden_block_count_x
      - .offset:         28
        .size:           4
        .value_kind:     hidden_block_count_y
      - .offset:         32
        .size:           4
        .value_kind:     hidden_block_count_z
      - .offset:         36
        .size:           2
        .value_kind:     hidden_group_size_x
      - .offset:         38
        .size:           2
        .value_kind:     hidden_group_size_y
      - .offset:         40
        .size:           2
        .value_kind:     hidden_group_size_z
      - .offset:         42
        .size:           2
        .value_kind:     hidden_remainder_x
      - .offset:         44
        .size:           2
        .value_kind:     hidden_remainder_y
      - .offset:         46
        .size:           2
        .value_kind:     hidden_remainder_z
      - .offset:         64
        .size:           8
        .value_kind:     hidden_global_offset_x
      - .offset:         72
        .size:           8
        .value_kind:     hidden_global_offset_y
      - .offset:         80
        .size:           8
        .value_kind:     hidden_global_offset_z
      - .offset:         88
        .size:           2
        .value_kind:     hidden_grid_dims
    .group_segment_fixed_size: 512
    .kernarg_segment_align: 8
    .kernarg_segment_size: 280
    .language:       OpenCL C
    .language_version:
      - 2
      - 0
    .max_flat_workgroup_size: 1024
    .name:           _Z24ChannelShuffleNHWCKernelIfLi128EEviiPKT_PS0_
    .private_segment_fixed_size: 0
    .sgpr_count:     21
    .sgpr_spill_count: 0
    .symbol:         _Z24ChannelShuffleNHWCKernelIfLi128EEviiPKT_PS0_.kd
    .uniform_work_group_size: 1
    .uses_dynamic_stack: false
    .vgpr_count:     9
    .vgpr_spill_count: 0
    .wavefront_size: 64
  - .args:
      - .offset:         0
        .size:           4
        .value_kind:     by_value
      - .offset:         4
        .size:           4
        .value_kind:     by_value
      - .address_space:  global
        .offset:         8
        .size:           8
        .value_kind:     global_buffer
      - .address_space:  global
        .offset:         16
        .size:           8
        .value_kind:     global_buffer
      - .offset:         24
        .size:           4
        .value_kind:     hidden_block_count_x
      - .offset:         28
        .size:           4
        .value_kind:     hidden_block_count_y
      - .offset:         32
        .size:           4
        .value_kind:     hidden_block_count_z
      - .offset:         36
        .size:           2
        .value_kind:     hidden_group_size_x
      - .offset:         38
        .size:           2
        .value_kind:     hidden_group_size_y
      - .offset:         40
        .size:           2
        .value_kind:     hidden_group_size_z
      - .offset:         42
        .size:           2
        .value_kind:     hidden_remainder_x
      - .offset:         44
        .size:           2
        .value_kind:     hidden_remainder_y
      - .offset:         46
        .size:           2
        .value_kind:     hidden_remainder_z
      - .offset:         64
        .size:           8
        .value_kind:     hidden_global_offset_x
      - .offset:         72
        .size:           8
        .value_kind:     hidden_global_offset_y
      - .offset:         80
        .size:           8
        .value_kind:     hidden_global_offset_z
      - .offset:         88
        .size:           2
        .value_kind:     hidden_grid_dims
    .group_segment_fixed_size: 2048
    .kernarg_segment_align: 8
    .kernarg_segment_size: 280
    .language:       OpenCL C
    .language_version:
      - 2
      - 0
    .max_flat_workgroup_size: 1024
    .name:           _Z24ChannelShuffleNHWCKernelIfLi512EEviiPKT_PS0_
    .private_segment_fixed_size: 0
    .sgpr_count:     21
    .sgpr_spill_count: 0
    .symbol:         _Z24ChannelShuffleNHWCKernelIfLi512EEviiPKT_PS0_.kd
    .uniform_work_group_size: 1
    .uses_dynamic_stack: false
    .vgpr_count:     9
    .vgpr_spill_count: 0
    .wavefront_size: 64
  - .args:
      - .offset:         0
        .size:           4
        .value_kind:     by_value
      - .offset:         4
        .size:           4
        .value_kind:     by_value
      - .offset:         8
        .size:           4
        .value_kind:     by_value
      - .address_space:  global
        .offset:         16
        .size:           8
        .value_kind:     global_buffer
      - .address_space:  global
        .offset:         24
        .size:           8
        .value_kind:     global_buffer
    .group_segment_fixed_size: 0
    .kernarg_segment_align: 8
    .kernarg_segment_size: 32
    .language:       OpenCL C
    .language_version:
      - 2
      - 0
    .max_flat_workgroup_size: 1024
    .name:           _Z24ChannelShuffleNCHWKernelIfLb0EEviiiPKT_PS0_
    .private_segment_fixed_size: 0
    .sgpr_count:     20
    .sgpr_spill_count: 0
    .symbol:         _Z24ChannelShuffleNCHWKernelIfLb0EEviiiPKT_PS0_.kd
    .uniform_work_group_size: 1
    .uses_dynamic_stack: false
    .vgpr_count:     4
    .vgpr_spill_count: 0
    .wavefront_size: 64
  - .args:
      - .offset:         0
        .size:           4
        .value_kind:     by_value
      - .offset:         4
        .size:           4
        .value_kind:     by_value
      - .offset:         8
        .size:           4
        .value_kind:     by_value
      - .address_space:  global
        .offset:         16
        .size:           8
        .value_kind:     global_buffer
      - .address_space:  global
        .offset:         24
        .size:           8
        .value_kind:     global_buffer
    .group_segment_fixed_size: 0
    .kernarg_segment_align: 8
    .kernarg_segment_size: 32
    .language:       OpenCL C
    .language_version:
      - 2
      - 0
    .max_flat_workgroup_size: 1024
    .name:           _Z24ChannelShuffleNCHWKernelIfLb1EEviiiPKT_PS0_
    .private_segment_fixed_size: 0
    .sgpr_count:     20
    .sgpr_spill_count: 0
    .symbol:         _Z24ChannelShuffleNCHWKernelIfLb1EEviiiPKT_PS0_.kd
    .uniform_work_group_size: 1
    .uses_dynamic_stack: false
    .vgpr_count:     4
    .vgpr_spill_count: 0
    .wavefront_size: 64
amdhsa.target:   amdgcn-amd-amdhsa--gfx906
amdhsa.version:
  - 1
  - 2
...

	.end_amdgpu_metadata
